;; amdgpu-corpus repo=ROCm/rocFFT kind=compiled arch=gfx1030 opt=O3
	.text
	.amdgcn_target "amdgcn-amd-amdhsa--gfx1030"
	.amdhsa_code_object_version 6
	.protected	fft_rtc_fwd_len528_factors_4_4_3_11_wgs_48_tpt_48_halfLds_half_op_CI_CI_unitstride_sbrr_R2C_dirReg ; -- Begin function fft_rtc_fwd_len528_factors_4_4_3_11_wgs_48_tpt_48_halfLds_half_op_CI_CI_unitstride_sbrr_R2C_dirReg
	.globl	fft_rtc_fwd_len528_factors_4_4_3_11_wgs_48_tpt_48_halfLds_half_op_CI_CI_unitstride_sbrr_R2C_dirReg
	.p2align	8
	.type	fft_rtc_fwd_len528_factors_4_4_3_11_wgs_48_tpt_48_halfLds_half_op_CI_CI_unitstride_sbrr_R2C_dirReg,@function
fft_rtc_fwd_len528_factors_4_4_3_11_wgs_48_tpt_48_halfLds_half_op_CI_CI_unitstride_sbrr_R2C_dirReg: ; @fft_rtc_fwd_len528_factors_4_4_3_11_wgs_48_tpt_48_halfLds_half_op_CI_CI_unitstride_sbrr_R2C_dirReg
; %bb.0:
	s_clause 0x2
	s_load_dwordx4 s[12:15], s[4:5], 0x0
	s_load_dwordx4 s[8:11], s[4:5], 0x58
	;; [unrolled: 1-line block ×3, first 2 shown]
	v_mul_u32_u24_e32 v1, 0x556, v0
	v_mov_b32_e32 v3, 0
	v_mov_b32_e32 v10, 0
	;; [unrolled: 1-line block ×3, first 2 shown]
	v_add_nc_u32_sdwa v7, s6, v1 dst_sel:DWORD dst_unused:UNUSED_PAD src0_sel:DWORD src1_sel:WORD_1
	v_mov_b32_e32 v8, v3
	s_waitcnt lgkmcnt(0)
	v_cmp_lt_u64_e64 s0, s[14:15], 2
	s_and_b32 vcc_lo, exec_lo, s0
	s_cbranch_vccnz .LBB0_8
; %bb.1:
	s_load_dwordx2 s[0:1], s[4:5], 0x10
	v_mov_b32_e32 v10, 0
	v_mov_b32_e32 v11, 0
	s_add_u32 s2, s18, 8
	s_addc_u32 s3, s19, 0
	v_mov_b32_e32 v1, v10
	s_add_u32 s6, s16, 8
	v_mov_b32_e32 v2, v11
	s_addc_u32 s7, s17, 0
	s_mov_b64 s[22:23], 1
	s_waitcnt lgkmcnt(0)
	s_add_u32 s20, s0, 8
	s_addc_u32 s21, s1, 0
.LBB0_2:                                ; =>This Inner Loop Header: Depth=1
	s_load_dwordx2 s[24:25], s[20:21], 0x0
                                        ; implicit-def: $vgpr5_vgpr6
	s_mov_b32 s0, exec_lo
	s_waitcnt lgkmcnt(0)
	v_or_b32_e32 v4, s25, v8
	v_cmpx_ne_u64_e32 0, v[3:4]
	s_xor_b32 s1, exec_lo, s0
	s_cbranch_execz .LBB0_4
; %bb.3:                                ;   in Loop: Header=BB0_2 Depth=1
	v_cvt_f32_u32_e32 v4, s24
	v_cvt_f32_u32_e32 v5, s25
	s_sub_u32 s0, 0, s24
	s_subb_u32 s26, 0, s25
	v_fmac_f32_e32 v4, 0x4f800000, v5
	v_rcp_f32_e32 v4, v4
	v_mul_f32_e32 v4, 0x5f7ffffc, v4
	v_mul_f32_e32 v5, 0x2f800000, v4
	v_trunc_f32_e32 v5, v5
	v_fmac_f32_e32 v4, 0xcf800000, v5
	v_cvt_u32_f32_e32 v5, v5
	v_cvt_u32_f32_e32 v4, v4
	v_mul_lo_u32 v6, s0, v5
	v_mul_hi_u32 v9, s0, v4
	v_mul_lo_u32 v12, s26, v4
	v_add_nc_u32_e32 v6, v9, v6
	v_mul_lo_u32 v9, s0, v4
	v_add_nc_u32_e32 v6, v6, v12
	v_mul_hi_u32 v12, v4, v9
	v_mul_lo_u32 v13, v4, v6
	v_mul_hi_u32 v14, v4, v6
	v_mul_hi_u32 v15, v5, v9
	v_mul_lo_u32 v9, v5, v9
	v_mul_hi_u32 v16, v5, v6
	v_mul_lo_u32 v6, v5, v6
	v_add_co_u32 v12, vcc_lo, v12, v13
	v_add_co_ci_u32_e32 v13, vcc_lo, 0, v14, vcc_lo
	v_add_co_u32 v9, vcc_lo, v12, v9
	v_add_co_ci_u32_e32 v9, vcc_lo, v13, v15, vcc_lo
	v_add_co_ci_u32_e32 v12, vcc_lo, 0, v16, vcc_lo
	v_add_co_u32 v6, vcc_lo, v9, v6
	v_add_co_ci_u32_e32 v9, vcc_lo, 0, v12, vcc_lo
	v_add_co_u32 v4, vcc_lo, v4, v6
	v_add_co_ci_u32_e32 v5, vcc_lo, v5, v9, vcc_lo
	v_mul_hi_u32 v6, s0, v4
	v_mul_lo_u32 v12, s26, v4
	v_mul_lo_u32 v9, s0, v5
	v_add_nc_u32_e32 v6, v6, v9
	v_mul_lo_u32 v9, s0, v4
	v_add_nc_u32_e32 v6, v6, v12
	v_mul_hi_u32 v12, v4, v9
	v_mul_lo_u32 v13, v4, v6
	v_mul_hi_u32 v14, v4, v6
	v_mul_hi_u32 v15, v5, v9
	v_mul_lo_u32 v9, v5, v9
	v_mul_hi_u32 v16, v5, v6
	v_mul_lo_u32 v6, v5, v6
	v_add_co_u32 v12, vcc_lo, v12, v13
	v_add_co_ci_u32_e32 v13, vcc_lo, 0, v14, vcc_lo
	v_add_co_u32 v9, vcc_lo, v12, v9
	v_add_co_ci_u32_e32 v9, vcc_lo, v13, v15, vcc_lo
	v_add_co_ci_u32_e32 v12, vcc_lo, 0, v16, vcc_lo
	v_add_co_u32 v6, vcc_lo, v9, v6
	v_add_co_ci_u32_e32 v9, vcc_lo, 0, v12, vcc_lo
	v_add_co_u32 v6, vcc_lo, v4, v6
	v_add_co_ci_u32_e32 v9, vcc_lo, v5, v9, vcc_lo
	v_mul_hi_u32 v16, v7, v6
	v_mad_u64_u32 v[12:13], null, v8, v6, 0
	v_mad_u64_u32 v[4:5], null, v7, v9, 0
	;; [unrolled: 1-line block ×3, first 2 shown]
	v_add_co_u32 v4, vcc_lo, v16, v4
	v_add_co_ci_u32_e32 v5, vcc_lo, 0, v5, vcc_lo
	v_add_co_u32 v4, vcc_lo, v4, v12
	v_add_co_ci_u32_e32 v4, vcc_lo, v5, v13, vcc_lo
	v_add_co_ci_u32_e32 v5, vcc_lo, 0, v15, vcc_lo
	v_add_co_u32 v9, vcc_lo, v4, v14
	v_add_co_ci_u32_e32 v6, vcc_lo, 0, v5, vcc_lo
	v_mul_lo_u32 v12, s25, v9
	v_mad_u64_u32 v[4:5], null, s24, v9, 0
	v_mul_lo_u32 v13, s24, v6
	v_sub_co_u32 v4, vcc_lo, v7, v4
	v_add3_u32 v5, v5, v13, v12
	v_sub_nc_u32_e32 v12, v8, v5
	v_subrev_co_ci_u32_e64 v12, s0, s25, v12, vcc_lo
	v_add_co_u32 v13, s0, v9, 2
	v_add_co_ci_u32_e64 v14, s0, 0, v6, s0
	v_sub_co_u32 v15, s0, v4, s24
	v_sub_co_ci_u32_e32 v5, vcc_lo, v8, v5, vcc_lo
	v_subrev_co_ci_u32_e64 v12, s0, 0, v12, s0
	v_cmp_le_u32_e32 vcc_lo, s24, v15
	v_cmp_eq_u32_e64 s0, s25, v5
	v_cndmask_b32_e64 v15, 0, -1, vcc_lo
	v_cmp_le_u32_e32 vcc_lo, s25, v12
	v_cndmask_b32_e64 v16, 0, -1, vcc_lo
	v_cmp_le_u32_e32 vcc_lo, s24, v4
	;; [unrolled: 2-line block ×3, first 2 shown]
	v_cndmask_b32_e64 v17, 0, -1, vcc_lo
	v_cmp_eq_u32_e32 vcc_lo, s25, v12
	v_cndmask_b32_e64 v4, v17, v4, s0
	v_cndmask_b32_e32 v12, v16, v15, vcc_lo
	v_add_co_u32 v15, vcc_lo, v9, 1
	v_add_co_ci_u32_e32 v16, vcc_lo, 0, v6, vcc_lo
	v_cmp_ne_u32_e32 vcc_lo, 0, v12
	v_cndmask_b32_e32 v5, v16, v14, vcc_lo
	v_cndmask_b32_e32 v12, v15, v13, vcc_lo
	v_cmp_ne_u32_e32 vcc_lo, 0, v4
	v_cndmask_b32_e32 v6, v6, v5, vcc_lo
	v_cndmask_b32_e32 v5, v9, v12, vcc_lo
.LBB0_4:                                ;   in Loop: Header=BB0_2 Depth=1
	s_andn2_saveexec_b32 s0, s1
	s_cbranch_execz .LBB0_6
; %bb.5:                                ;   in Loop: Header=BB0_2 Depth=1
	v_cvt_f32_u32_e32 v4, s24
	s_sub_i32 s1, 0, s24
	v_rcp_iflag_f32_e32 v4, v4
	v_mul_f32_e32 v4, 0x4f7ffffe, v4
	v_cvt_u32_f32_e32 v4, v4
	v_mul_lo_u32 v5, s1, v4
	v_mul_hi_u32 v5, v4, v5
	v_add_nc_u32_e32 v4, v4, v5
	v_mul_hi_u32 v4, v7, v4
	v_mul_lo_u32 v5, v4, s24
	v_add_nc_u32_e32 v6, 1, v4
	v_sub_nc_u32_e32 v5, v7, v5
	v_subrev_nc_u32_e32 v9, s24, v5
	v_cmp_le_u32_e32 vcc_lo, s24, v5
	v_cndmask_b32_e32 v5, v5, v9, vcc_lo
	v_cndmask_b32_e32 v4, v4, v6, vcc_lo
	v_cmp_le_u32_e32 vcc_lo, s24, v5
	v_add_nc_u32_e32 v6, 1, v4
	v_cndmask_b32_e32 v5, v4, v6, vcc_lo
	v_mov_b32_e32 v6, v3
.LBB0_6:                                ;   in Loop: Header=BB0_2 Depth=1
	s_or_b32 exec_lo, exec_lo, s0
	v_mul_lo_u32 v4, v6, s24
	v_mul_lo_u32 v9, v5, s25
	s_load_dwordx2 s[0:1], s[6:7], 0x0
	v_mad_u64_u32 v[12:13], null, v5, s24, 0
	s_load_dwordx2 s[24:25], s[2:3], 0x0
	s_add_u32 s22, s22, 1
	s_addc_u32 s23, s23, 0
	s_add_u32 s2, s2, 8
	s_addc_u32 s3, s3, 0
	s_add_u32 s6, s6, 8
	v_add3_u32 v4, v13, v9, v4
	v_sub_co_u32 v7, vcc_lo, v7, v12
	s_addc_u32 s7, s7, 0
	s_add_u32 s20, s20, 8
	v_sub_co_ci_u32_e32 v4, vcc_lo, v8, v4, vcc_lo
	s_addc_u32 s21, s21, 0
	s_waitcnt lgkmcnt(0)
	v_mul_lo_u32 v8, s0, v4
	v_mul_lo_u32 v9, s1, v7
	v_mad_u64_u32 v[10:11], null, s0, v7, v[10:11]
	v_mul_lo_u32 v4, s24, v4
	v_mul_lo_u32 v12, s25, v7
	v_mad_u64_u32 v[1:2], null, s24, v7, v[1:2]
	v_cmp_ge_u64_e64 s0, s[22:23], s[14:15]
	v_add3_u32 v11, v9, v11, v8
	v_add3_u32 v2, v12, v2, v4
	s_and_b32 vcc_lo, exec_lo, s0
	s_cbranch_vccnz .LBB0_9
; %bb.7:                                ;   in Loop: Header=BB0_2 Depth=1
	v_mov_b32_e32 v8, v6
	v_mov_b32_e32 v7, v5
	s_branch .LBB0_2
.LBB0_8:
	v_mov_b32_e32 v1, v10
	v_mov_b32_e32 v5, v7
	;; [unrolled: 1-line block ×4, first 2 shown]
.LBB0_9:
	s_load_dwordx2 s[0:1], s[4:5], 0x28
	v_mul_hi_u32 v4, 0x5555556, v0
	s_lshl_b64 s[4:5], s[14:15], 3
                                        ; implicit-def: $vgpr3
                                        ; implicit-def: $vgpr7
                                        ; implicit-def: $vgpr9
	s_add_u32 s2, s18, s4
	s_addc_u32 s3, s19, s5
	s_waitcnt lgkmcnt(0)
	v_cmp_gt_u64_e32 vcc_lo, s[0:1], v[5:6]
	v_cmp_le_u64_e64 s0, s[0:1], v[5:6]
	s_and_saveexec_b32 s1, s0
	s_xor_b32 s0, exec_lo, s1
; %bb.10:
	v_mul_u32_u24_e32 v3, 48, v4
                                        ; implicit-def: $vgpr4
                                        ; implicit-def: $vgpr10_vgpr11
	v_sub_nc_u32_e32 v3, v0, v3
                                        ; implicit-def: $vgpr0
	v_add_nc_u32_e32 v7, 48, v3
	v_add_nc_u32_e32 v9, 0x60, v3
; %bb.11:
	s_andn2_saveexec_b32 s1, s0
	s_cbranch_execz .LBB0_13
; %bb.12:
	s_add_u32 s4, s16, s4
	s_addc_u32 s5, s17, s5
	s_load_dwordx2 s[4:5], s[4:5], 0x0
	s_waitcnt lgkmcnt(0)
	v_mul_lo_u32 v3, s5, v5
	v_mul_lo_u32 v9, s4, v6
	v_mad_u64_u32 v[7:8], null, s4, v5, 0
	v_add3_u32 v8, v8, v9, v3
	v_mul_u32_u24_e32 v3, 48, v4
	v_lshlrev_b64 v[9:10], 2, v[10:11]
	v_lshlrev_b64 v[7:8], 2, v[7:8]
	v_sub_nc_u32_e32 v3, v0, v3
	v_lshlrev_b32_e32 v11, 2, v3
	v_add_co_u32 v0, s0, s8, v7
	v_add_co_ci_u32_e64 v4, s0, s9, v8, s0
	v_add_co_u32 v0, s0, v0, v9
	v_add_co_ci_u32_e64 v4, s0, v4, v10, s0
	v_add_nc_u32_e32 v9, 0x60, v3
	v_add_co_u32 v7, s0, v0, v11
	v_add_co_ci_u32_e64 v8, s0, 0, v4, s0
	s_clause 0xa
	global_load_dword v0, v[7:8], off
	global_load_dword v4, v[7:8], off offset:192
	global_load_dword v10, v[7:8], off offset:384
	;; [unrolled: 1-line block ×10, first 2 shown]
	v_add_nc_u32_e32 v11, 0, v11
	v_add_nc_u32_e32 v7, 48, v3
	;; [unrolled: 1-line block ×3, first 2 shown]
	s_waitcnt vmcnt(9)
	ds_write2_b32 v11, v0, v4 offset1:48
	s_waitcnt vmcnt(7)
	ds_write2_b32 v11, v10, v12 offset0:96 offset1:144
	s_waitcnt vmcnt(5)
	ds_write2_b32 v11, v13, v14 offset0:192 offset1:240
	;; [unrolled: 2-line block ×4, first 2 shown]
	s_waitcnt vmcnt(0)
	ds_write_b32 v11, v8 offset:1920
.LBB0_13:
	s_or_b32 exec_lo, exec_lo, s1
	v_lshl_add_u32 v0, v3, 2, 0
	s_load_dwordx2 s[2:3], s[2:3], 0x0
	s_waitcnt lgkmcnt(0)
	s_barrier
	buffer_gl0_inv
	v_add_nc_u32_e32 v4, 0x400, v0
	v_lshl_add_u32 v8, v7, 4, 0
	ds_read2_b32 v[10:11], v0 offset0:96 offset1:132
	ds_read2_b32 v[12:13], v0 offset0:180 offset1:228
	ds_read2_b32 v[14:15], v0 offset1:48
	ds_read2_b32 v[16:17], v4 offset0:104 offset1:140
	ds_read2_b32 v[18:19], v4 offset0:188 offset1:236
	;; [unrolled: 1-line block ×3, first 2 shown]
	v_mad_u32_u24 v23, v3, 12, v0
	s_waitcnt lgkmcnt(0)
	s_barrier
	buffer_gl0_inv
	v_pk_add_f16 v16, v10, v16 neg_lo:[0,1] neg_hi:[0,1]
	v_pk_add_f16 v22, v13, v19 neg_lo:[0,1] neg_hi:[0,1]
	;; [unrolled: 1-line block ×6, first 2 shown]
	v_pk_fma_f16 v25, v10, 2.0, v16 op_sel_hi:[1,0,1] neg_lo:[0,0,1] neg_hi:[0,0,1]
	v_pk_fma_f16 v10, v13, 2.0, v22 op_sel_hi:[1,0,1] neg_lo:[0,0,1] neg_hi:[0,0,1]
	v_sub_f16_sdwa v19, v16, v22 dst_sel:DWORD dst_unused:UNUSED_PAD src0_sel:DWORD src1_sel:WORD_1
	v_alignbit_b32 v26, s0, v18, 16
	v_alignbit_b32 v28, s0, v24, 16
	v_pk_fma_f16 v14, v14, 2.0, v20 op_sel_hi:[1,0,1] neg_lo:[0,0,1] neg_hi:[0,0,1]
	v_pk_fma_f16 v29, v11, 2.0, v17 op_sel_hi:[1,0,1] neg_lo:[0,0,1] neg_hi:[0,0,1]
	v_alignbit_b32 v30, s0, v17, 16
	v_alignbit_b32 v32, s0, v20, 16
	v_lshrrev_b32_e32 v13, 16, v16
	v_pk_fma_f16 v15, v15, 2.0, v24 op_sel_hi:[1,0,1] neg_lo:[0,0,1] neg_hi:[0,0,1]
	v_pk_fma_f16 v12, v12, 2.0, v18 op_sel_hi:[1,0,1] neg_lo:[0,0,1] neg_hi:[0,0,1]
	v_lshrrev_b32_e32 v31, 16, v20
	v_pk_add_f16 v11, v25, v10 neg_lo:[0,1] neg_hi:[0,1]
	v_fma_f16 v10, v16, 2.0, -v19
	v_pk_add_f16 v16, v24, v26 neg_lo:[0,1] neg_hi:[0,1]
	v_pk_add_f16 v26, v28, v18
	v_pk_add_f16 v28, v14, v29 neg_lo:[0,1] neg_hi:[0,1]
	v_pk_add_f16 v29, v20, v30 neg_lo:[0,1] neg_hi:[0,1]
	v_pk_add_f16 v17, v32, v17
	v_lshrrev_b32_e32 v27, 16, v24
	v_add_f16_e32 v21, v13, v22
	v_pk_add_f16 v12, v15, v12 neg_lo:[0,1] neg_hi:[0,1]
	v_pk_fma_f16 v18, v25, 2.0, v11 op_sel_hi:[1,0,1] neg_lo:[0,0,1] neg_hi:[0,0,1]
	v_fma_f16 v20, v20, 2.0, -v29
	v_fma_f16 v25, v31, 2.0, -v17
	;; [unrolled: 1-line block ×3, first 2 shown]
	v_pk_fma_f16 v13, v15, 2.0, v12 op_sel_hi:[1,0,1] neg_lo:[0,0,1] neg_hi:[0,0,1]
	v_fma_f16 v15, v24, 2.0, -v16
	v_fma_f16 v24, v27, 2.0, -v26
	v_pk_fma_f16 v14, v14, 2.0, v28 op_sel_hi:[1,0,1] neg_lo:[0,0,1] neg_hi:[0,0,1]
	v_pack_b32_f16 v20, v20, v25
	v_cmp_gt_u32_e64 s0, 36, v3
	v_pack_b32_f16 v17, v29, v17
	v_pack_b32_f16 v15, v15, v24
	;; [unrolled: 1-line block ×3, first 2 shown]
	ds_write2_b32 v23, v14, v20 offset1:1
	ds_write2_b32 v23, v28, v17 offset0:2 offset1:3
	ds_write2_b32 v8, v13, v15 offset1:1
	ds_write2_b32 v8, v12, v16 offset0:2 offset1:3
	s_and_saveexec_b32 s1, s0
	s_cbranch_execz .LBB0_15
; %bb.14:
	v_lshl_add_u32 v12, v9, 4, 0
	v_perm_b32 v13, v22, v10, 0x5040100
	v_perm_b32 v14, v21, v19, 0x5040100
	ds_write2_b32 v12, v18, v13 offset1:1
	ds_write2_b32 v12, v11, v14 offset0:2 offset1:3
.LBB0_15:
	s_or_b32 exec_lo, exec_lo, s1
	v_add_nc_u32_e32 v26, 0x200, v0
	v_mad_i32_i24 v20, v7, -12, v8
	s_waitcnt lgkmcnt(0)
	s_barrier
	buffer_gl0_inv
	ds_read2_b32 v[12:13], v0 offset1:132
	ds_read2_b32 v[16:17], v26 offset0:52 offset1:136
	ds_read2_b32 v[14:15], v4 offset0:56 offset1:140
	ds_read_b32 v23, v20
	ds_read_b32 v24, v0 offset:1776
	v_lshlrev_b32_e32 v28, 2, v7
	v_lshrrev_b32_e32 v25, 16, v11
	v_lshl_add_u32 v20, v9, 2, 0
	s_and_saveexec_b32 s1, s0
	s_cbranch_execz .LBB0_17
; %bb.16:
	ds_read2_b32 v[10:11], v26 offset0:100 offset1:232
	ds_read_b32 v19, v0 offset:1968
	ds_read_b32 v18, v20
	s_waitcnt lgkmcnt(2)
	v_lshrrev_b32_e32 v22, 16, v10
	v_lshrrev_b32_e32 v25, 16, v11
	s_waitcnt lgkmcnt(1)
	v_lshrrev_b32_e32 v21, 16, v19
.LBB0_17:
	s_or_b32 exec_lo, exec_lo, s1
	v_and_b32_e32 v27, 3, v3
	s_waitcnt lgkmcnt(4)
	v_lshrrev_b32_e32 v34, 16, v13
	s_waitcnt lgkmcnt(3)
	v_lshrrev_b32_e32 v35, 16, v17
	;; [unrolled: 2-line block ×3, first 2 shown]
	v_lshrrev_b32_e32 v37, 16, v16
	v_mul_u32_u24_e32 v4, 3, v27
	v_lshrrev_b32_e32 v39, 16, v14
	s_waitcnt lgkmcnt(0)
	v_lshrrev_b32_e32 v40, 16, v24
	v_lshrrev_b32_e32 v32, 16, v12
	;; [unrolled: 1-line block ×3, first 2 shown]
	v_lshlrev_b32_e32 v4, 2, v4
	v_lshrrev_b32_e32 v41, 16, v18
	v_and_or_b32 v28, 0x1f0, v28, v27
	v_mul_i32_i24_e32 v26, -12, v7
	global_load_dwordx3 v[29:31], v4, s[12:13]
	v_lshlrev_b32_e32 v4, 2, v3
	v_lshl_add_u32 v28, v28, 2, 0
	s_waitcnt vmcnt(0)
	s_barrier
	buffer_gl0_inv
	v_and_or_b32 v38, 0xf0, v4, v27
	v_lshl_add_u32 v38, v38, 2, 0
	v_mul_f16_sdwa v42, v29, v34 dst_sel:DWORD dst_unused:UNUSED_PAD src0_sel:WORD_1 src1_sel:DWORD
	v_mul_f16_sdwa v43, v29, v13 dst_sel:DWORD dst_unused:UNUSED_PAD src0_sel:WORD_1 src1_sel:DWORD
	;; [unrolled: 1-line block ×12, first 2 shown]
	v_mul_f16_sdwa v54, v22, v29 dst_sel:DWORD dst_unused:UNUSED_PAD src0_sel:DWORD src1_sel:WORD_1
	v_mul_f16_sdwa v55, v10, v29 dst_sel:DWORD dst_unused:UNUSED_PAD src0_sel:DWORD src1_sel:WORD_1
	;; [unrolled: 1-line block ×6, first 2 shown]
	v_fma_f16 v13, v29, v13, -v42
	v_fmac_f16_e32 v43, v29, v34
	v_fma_f16 v17, v30, v17, -v44
	v_fmac_f16_e32 v45, v30, v35
	;; [unrolled: 2-line block ×9, first 2 shown]
	v_sub_f16_e32 v17, v12, v17
	v_sub_f16_e32 v21, v32, v45
	;; [unrolled: 1-line block ×12, first 2 shown]
	v_fma_f16 v34, v12, 2.0, -v17
	v_fma_f16 v32, v32, 2.0, -v21
	;; [unrolled: 1-line block ×8, first 2 shown]
	v_sub_f16_e32 v37, v17, v22
	v_add_f16_e32 v15, v21, v15
	v_sub_f16_e32 v29, v14, v29
	v_add_f16_e32 v40, v25, v24
	v_fma_f16 v12, v18, 2.0, -v30
	v_fma_f16 v13, v41, 2.0, -v31
	v_fma_f16 v10, v10, 2.0, -v11
	v_fma_f16 v18, v55, 2.0, -v19
	v_sub_f16_e32 v22, v30, v19
	v_sub_f16_e32 v19, v34, v35
	v_sub_f16_e32 v35, v32, v36
	v_sub_f16_e32 v16, v23, v16
	v_sub_f16_e32 v36, v33, v39
	v_add_f16_e32 v24, v31, v11
	v_fma_f16 v17, v17, 2.0, -v37
	v_fma_f16 v21, v21, 2.0, -v15
	;; [unrolled: 1-line block ×4, first 2 shown]
	v_sub_f16_e32 v11, v12, v10
	v_sub_f16_e32 v25, v13, v18
	v_fma_f16 v10, v30, 2.0, -v22
	v_pack_b32_f16 v18, v29, v40
	v_fma_f16 v29, v34, 2.0, -v19
	v_fma_f16 v30, v32, 2.0, -v35
	;; [unrolled: 1-line block ×4, first 2 shown]
	v_pack_b32_f16 v15, v37, v15
	v_pack_b32_f16 v17, v17, v21
	;; [unrolled: 1-line block ×5, first 2 shown]
	v_fma_f16 v23, v31, 2.0, -v24
	v_pack_b32_f16 v14, v14, v39
	v_pack_b32_f16 v16, v16, v36
	ds_write2_b32 v38, v19, v15 offset0:8 offset1:12
	ds_write2_b32 v38, v21, v17 offset1:4
	ds_write2_b32 v28, v29, v14 offset1:4
	ds_write2_b32 v28, v16, v18 offset0:8 offset1:12
	s_and_saveexec_b32 s1, s0
	s_cbranch_execz .LBB0_19
; %bb.18:
	v_lshlrev_b32_e32 v14, 2, v9
	v_fma_f16 v12, v12, 2.0, -v11
	v_fma_f16 v13, v13, 2.0, -v25
	v_perm_b32 v15, v23, v10, 0x5040100
	v_perm_b32 v16, v25, v11, 0x5040100
	v_and_or_b32 v14, 0x3f0, v14, v27
	v_pack_b32_f16 v12, v12, v13
	v_lshl_add_u32 v13, v14, 2, 0
	v_perm_b32 v14, v24, v22, 0x5040100
	ds_write2_b32 v13, v12, v15 offset1:4
	ds_write2_b32 v13, v16, v14 offset0:8 offset1:12
.LBB0_19:
	s_or_b32 exec_lo, exec_lo, s1
	v_add_nc_u32_e32 v15, 0x400, v0
	v_add_nc_u32_e32 v14, 0x200, v0
	v_add_nc_u32_e32 v21, v8, v26
	s_waitcnt lgkmcnt(0)
	s_barrier
	buffer_gl0_inv
	ds_read2_b32 v[12:13], v0 offset1:176
	ds_read2_b32 v[18:19], v15 offset0:96 offset1:144
	ds_read2_b32 v[16:17], v14 offset0:96 offset1:144
	ds_read_b32 v26, v20
	ds_read_b32 v27, v21
	ds_read_b32 v28, v0 offset:1792
	v_cmp_gt_u32_e64 s0, 32, v3
	s_and_saveexec_b32 s1, s0
	s_cbranch_execz .LBB0_21
; %bb.20:
	ds_read2_b32 v[10:11], v14 offset0:16 offset1:192
	ds_read_b32 v22, v0 offset:1984
	s_waitcnt lgkmcnt(1)
	v_lshrrev_b32_e32 v23, 16, v10
	v_lshrrev_b32_e32 v25, 16, v11
	s_waitcnt lgkmcnt(0)
	v_lshrrev_b32_e32 v24, 16, v22
.LBB0_21:
	s_or_b32 exec_lo, exec_lo, s1
	v_and_b32_e32 v8, 15, v3
	s_waitcnt lgkmcnt(5)
	v_lshrrev_b32_e32 v31, 16, v13
	s_waitcnt lgkmcnt(4)
	v_lshrrev_b32_e32 v32, 16, v18
	;; [unrolled: 2-line block ×3, first 2 shown]
	v_lshrrev_b32_e32 v37, 16, v19
	v_lshlrev_b32_e32 v14, 3, v8
	v_lshrrev_b32_e32 v38, 16, v17
	s_waitcnt lgkmcnt(0)
	v_lshrrev_b32_e32 v39, 16, v28
	v_lshrrev_b32_e32 v30, 16, v26
	;; [unrolled: 1-line block ×3, first 2 shown]
	global_load_dwordx2 v[14:15], v14, s[12:13] offset:48
	v_lshrrev_b32_e32 v29, 16, v27
	v_lshrrev_b32_e32 v35, 4, v3
	;; [unrolled: 1-line block ×4, first 2 shown]
	v_mul_lo_u32 v33, v33, 48
	s_waitcnt vmcnt(0)
	v_mul_u32_u24_e32 v35, 48, v35
	s_barrier
	v_mul_lo_u32 v34, v34, 48
	buffer_gl0_inv
	v_or_b32_e32 v35, v35, v8
	v_or_b32_e32 v33, v33, v8
	;; [unrolled: 1-line block ×3, first 2 shown]
	v_lshl_add_u32 v35, v35, 2, 0
	v_lshl_add_u32 v33, v33, 2, 0
	;; [unrolled: 1-line block ×3, first 2 shown]
	v_mul_f16_sdwa v41, v14, v31 dst_sel:DWORD dst_unused:UNUSED_PAD src0_sel:WORD_1 src1_sel:DWORD
	v_mul_f16_sdwa v42, v14, v13 dst_sel:DWORD dst_unused:UNUSED_PAD src0_sel:WORD_1 src1_sel:DWORD
	;; [unrolled: 1-line block ×12, first 2 shown]
	v_fma_f16 v13, v14, v13, -v41
	v_fmac_f16_e32 v42, v14, v31
	v_fma_f16 v18, v15, v18, -v43
	v_fmac_f16_e32 v44, v15, v32
	;; [unrolled: 2-line block ×6, first 2 shown]
	v_add_f16_e32 v32, v13, v18
	v_add_f16_e32 v38, v42, v44
	;; [unrolled: 1-line block ×5, first 2 shown]
	v_sub_f16_e32 v49, v50, v52
	v_add_f16_e32 v51, v30, v50
	v_add_f16_e32 v50, v50, v52
	;; [unrolled: 1-line block ×3, first 2 shown]
	v_sub_f16_e32 v36, v42, v44
	v_add_f16_e32 v37, v42, v40
	v_sub_f16_e32 v13, v13, v18
	v_add_f16_e32 v39, v27, v16
	;; [unrolled: 2-line block ×3, first 2 shown]
	v_add_f16_e32 v46, v26, v17
	v_fmac_f16_e32 v12, -0.5, v32
	v_fmac_f16_e32 v40, -0.5, v38
	v_sub_f16_e32 v16, v16, v19
	v_fmac_f16_e32 v27, -0.5, v41
	v_fmac_f16_e32 v29, -0.5, v45
	v_sub_f16_e32 v17, v17, v28
	v_fmac_f16_e32 v26, -0.5, v47
	v_fmac_f16_e32 v30, -0.5, v50
	v_add_f16_e32 v18, v31, v18
	v_add_f16_e32 v31, v37, v44
	;; [unrolled: 1-line block ×6, first 2 shown]
	v_fmamk_f16 v38, v36, 0x3aee, v12
	v_fmac_f16_e32 v12, 0xbaee, v36
	v_fmamk_f16 v36, v13, 0xbaee, v40
	v_fmac_f16_e32 v40, 0x3aee, v13
	v_fmamk_f16 v13, v42, 0x3aee, v27
	v_fmamk_f16 v39, v16, 0xbaee, v29
	v_fmac_f16_e32 v27, 0xbaee, v42
	v_fmac_f16_e32 v29, 0x3aee, v16
	v_fmamk_f16 v16, v49, 0x3aee, v26
	v_fmamk_f16 v41, v17, 0xbaee, v30
	v_fmac_f16_e32 v26, 0xbaee, v49
	v_fmac_f16_e32 v30, 0x3aee, v17
	v_pack_b32_f16 v17, v18, v31
	v_pack_b32_f16 v18, v19, v32
	;; [unrolled: 1-line block ×9, first 2 shown]
	ds_write2_b32 v35, v17, v28 offset1:16
	ds_write_b32 v35, v12 offset:128
	ds_write2_b32 v33, v18, v13 offset1:16
	ds_write_b32 v33, v27 offset:128
	;; [unrolled: 2-line block ×3, first 2 shown]
	s_and_saveexec_b32 s1, s0
	s_cbranch_execz .LBB0_23
; %bb.22:
	v_mul_f16_sdwa v12, v25, v14 dst_sel:DWORD dst_unused:UNUSED_PAD src0_sel:DWORD src1_sel:WORD_1
	v_mul_f16_sdwa v13, v11, v14 dst_sel:DWORD dst_unused:UNUSED_PAD src0_sel:DWORD src1_sel:WORD_1
	;; [unrolled: 1-line block ×4, first 2 shown]
	v_fma_f16 v11, v11, v14, -v12
	v_fmac_f16_e32 v13, v25, v14
	v_fmac_f16_e32 v16, v24, v15
	v_fma_f16 v12, v22, v15, -v17
	v_add_nc_u32_e32 v14, 0x90, v3
	v_add_f16_e32 v15, v13, v16
	v_add_f16_e32 v17, v11, v12
	v_lshrrev_b32_e32 v14, 4, v14
	v_sub_f16_e32 v18, v11, v12
	v_sub_f16_e32 v19, v13, v16
	v_fma_f16 v15, -0.5, v15, v23
	v_fma_f16 v17, -0.5, v17, v10
	v_add_f16_e32 v13, v23, v13
	v_add_f16_e32 v10, v10, v11
	v_mul_u32_u24_e32 v11, 48, v14
	v_fmamk_f16 v14, v18, 0x3aee, v15
	v_fmamk_f16 v22, v19, 0xbaee, v17
	v_fmac_f16_e32 v15, 0xbaee, v18
	v_add_f16_e32 v13, v13, v16
	v_or_b32_e32 v8, v11, v8
	v_add_f16_e32 v10, v10, v12
	v_fmac_f16_e32 v17, 0x3aee, v19
	v_pack_b32_f16 v12, v22, v14
	v_lshl_add_u32 v8, v8, 2, 0
	v_pack_b32_f16 v10, v10, v13
	v_pack_b32_f16 v11, v17, v15
	ds_write2_b32 v8, v10, v11 offset1:16
	ds_write_b32 v8, v12 offset:128
.LBB0_23:
	s_or_b32 exec_lo, exec_lo, s1
	v_mul_u32_u24_e32 v8, 10, v3
	s_waitcnt lgkmcnt(0)
	s_barrier
	buffer_gl0_inv
	s_add_u32 s1, s12, 0x830
	v_lshlrev_b32_e32 v8, 2, v8
	s_addc_u32 s4, s13, 0
	s_mov_b32 s5, exec_lo
	s_clause 0x2
	global_load_dwordx4 v[32:35], v8, s[12:13] offset:176
	global_load_dwordx4 v[36:39], v8, s[12:13] offset:192
	global_load_dwordx2 v[29:30], v8, s[12:13] offset:208
	ds_read_b32 v15, v21
	ds_read_b32 v44, v0 offset:1920
	v_add_nc_u32_e32 v8, 0x400, v0
	ds_read_b32 v17, v20
	ds_read2_b32 v[10:11], v0 offset1:144
	ds_read2_b32 v[24:25], v0 offset0:192 offset1:240
	ds_read2_b32 v[40:41], v8 offset0:32 offset1:80
	ds_read2_b32 v[42:43], v8 offset0:128 offset1:176
	s_waitcnt vmcnt(0) lgkmcnt(0)
	s_barrier
	buffer_gl0_inv
	v_lshrrev_b32_e32 v26, 16, v17
	v_lshrrev_b32_e32 v19, 16, v15
	;; [unrolled: 1-line block ×10, first 2 shown]
	v_mul_f16_sdwa v28, v32, v19 dst_sel:DWORD dst_unused:UNUSED_PAD src0_sel:WORD_1 src1_sel:DWORD
	v_mul_f16_sdwa v53, v32, v15 dst_sel:DWORD dst_unused:UNUSED_PAD src0_sel:WORD_1 src1_sel:DWORD
	;; [unrolled: 1-line block ×8, first 2 shown]
	v_mul_f16_sdwa v61, v52, v29 dst_sel:DWORD dst_unused:UNUSED_PAD src0_sel:DWORD src1_sel:WORD_1
	v_mul_f16_sdwa v13, v43, v29 dst_sel:DWORD dst_unused:UNUSED_PAD src0_sel:DWORD src1_sel:WORD_1
	v_fma_f16 v63, v32, v15, -v28
	v_fmac_f16_e32 v53, v32, v19
	v_mul_f16_sdwa v55, v34, v46 dst_sel:DWORD dst_unused:UNUSED_PAD src0_sel:WORD_1 src1_sel:DWORD
	v_mul_f16_sdwa v62, v45, v30 dst_sel:DWORD dst_unused:UNUSED_PAD src0_sel:DWORD src1_sel:WORD_1
	v_mul_f16_sdwa v12, v44, v30 dst_sel:DWORD dst_unused:UNUSED_PAD src0_sel:DWORD src1_sel:WORD_1
	v_mul_f16_sdwa v27, v34, v11 dst_sel:DWORD dst_unused:UNUSED_PAD src0_sel:WORD_1 src1_sel:DWORD
	v_mul_f16_sdwa v58, v49, v37 dst_sel:DWORD dst_unused:UNUSED_PAD src0_sel:DWORD src1_sel:WORD_1
	v_mul_f16_sdwa v60, v51, v39 dst_sel:DWORD dst_unused:UNUSED_PAD src0_sel:DWORD src1_sel:WORD_1
	;; [unrolled: 1-line block ×3, first 2 shown]
	v_fma_f16 v32, v33, v17, -v54
	v_fmac_f16_e32 v31, v33, v26
	v_fma_f16 v26, v35, v24, -v56
	v_fmac_f16_e32 v23, v35, v47
	;; [unrolled: 2-line block ×4, first 2 shown]
	v_add_f16_e32 v35, v63, v10
	v_add_f16_sdwa v36, v53, v10 dst_sel:DWORD dst_unused:UNUSED_PAD src0_sel:DWORD src1_sel:WORD_1
	v_mul_f16_sdwa v18, v40, v37 dst_sel:DWORD dst_unused:UNUSED_PAD src0_sel:DWORD src1_sel:WORD_1
	v_mul_f16_sdwa v59, v50, v38 dst_sel:DWORD dst_unused:UNUSED_PAD src0_sel:DWORD src1_sel:WORD_1
	v_mul_f16_sdwa v16, v41, v38 dst_sel:DWORD dst_unused:UNUSED_PAD src0_sel:DWORD src1_sel:WORD_1
	v_fma_f16 v28, v34, v11, -v55
	v_fma_f16 v11, v44, v30, -v62
	v_fmac_f16_e32 v12, v45, v30
	v_fmac_f16_e32 v27, v34, v46
	v_fma_f16 v24, v40, v37, -v58
	v_fma_f16 v17, v42, v39, -v60
	v_fmac_f16_e32 v14, v51, v39
	v_add_f16_e32 v34, v32, v15
	v_add_f16_e32 v33, v31, v13
	v_sub_f16_e32 v39, v32, v15
	v_sub_f16_e32 v40, v31, v13
	v_add_f16_e32 v32, v35, v32
	v_add_f16_e32 v31, v36, v31
	v_fmac_f16_e32 v18, v49, v37
	v_fma_f16 v19, v41, v38, -v59
	v_fmac_f16_e32 v16, v50, v38
	v_sub_f16_e32 v37, v63, v11
	v_sub_f16_e32 v38, v53, v12
	;; [unrolled: 1-line block ×3, first 2 shown]
	v_add_f16_e32 v42, v28, v17
	v_sub_f16_e32 v43, v28, v17
	v_add_f16_e32 v44, v27, v14
	v_add_f16_e32 v28, v32, v28
	;; [unrolled: 1-line block ×5, first 2 shown]
	v_sub_f16_e32 v45, v23, v16
	v_sub_f16_e32 v47, v26, v19
	;; [unrolled: 1-line block ×4, first 2 shown]
	v_mul_f16_e32 v35, 0xb853, v38
	v_mul_f16_e32 v36, 0xb853, v37
	;; [unrolled: 1-line block ×10, first 2 shown]
	v_add_f16_e32 v46, v26, v19
	v_add_f16_e32 v48, v23, v16
	;; [unrolled: 1-line block ×6, first 2 shown]
	v_mul_f16_e32 v59, 0xbb47, v40
	v_mul_f16_e32 v60, 0xbb47, v39
	;; [unrolled: 1-line block ×40, first 2 shown]
	v_fma_f16 v91, v29, 0x3abb, -v35
	v_fmamk_f16 v92, v30, 0x3abb, v36
	v_fmac_f16_e32 v35, 0x3abb, v29
	v_fma_f16 v36, v30, 0x3abb, -v36
	v_fma_f16 v93, v29, 0x36a6, -v53
	v_fmamk_f16 v94, v30, 0x36a6, v54
	v_fmac_f16_e32 v53, 0x36a6, v29
	v_fma_f16 v54, v30, 0x36a6, -v54
	;; [unrolled: 4-line block ×4, first 2 shown]
	v_fmamk_f16 v100, v30, 0xbbad, v37
	v_fma_f16 v58, v30, 0xb93d, -v58
	v_fmac_f16_e32 v38, 0xbbad, v29
	v_fma_f16 v29, v30, 0xbbad, -v37
	v_add_f16_e32 v25, v26, v25
	v_add_f16_e32 v22, v23, v22
	v_fma_f16 v30, v34, 0x36a6, -v59
	v_fmac_f16_e32 v59, 0x36a6, v34
	v_fma_f16 v37, v34, 0xb93d, -v61
	v_fmac_f16_e32 v61, 0xb93d, v34
	v_fma_f16 v101, v34, 0xbbad, -v63
	v_fmac_f16_e32 v63, 0xbbad, v34
	v_fma_f16 v102, v34, 0xb08e, -v64
	v_fmac_f16_e32 v64, 0xb08e, v34
	v_fma_f16 v103, v34, 0x3abb, -v40
	v_fmac_f16_e32 v40, 0x3abb, v34
	v_fmamk_f16 v34, v33, 0x36a6, v60
	v_fma_f16 v60, v33, 0x36a6, -v60
	v_fmamk_f16 v104, v33, 0xb93d, v62
	v_fma_f16 v62, v33, 0xb93d, -v62
	v_fmamk_f16 v105, v33, 0xbbad, v65
	v_fma_f16 v65, v33, 0xbbad, -v65
	v_fmamk_f16 v106, v33, 0xb08e, v66
	v_fma_f16 v66, v33, 0xb08e, -v66
	v_fmamk_f16 v107, v33, 0x3abb, v39
	v_fma_f16 v33, v33, 0x3abb, -v39
	v_fma_f16 v39, v42, 0xb08e, -v67
	v_fmac_f16_e32 v67, 0xb08e, v42
	v_fma_f16 v108, v42, 0xbbad, -v68
	v_fmac_f16_e32 v68, 0xbbad, v42
	v_fma_f16 v109, v42, 0x36a6, -v69
	v_fmac_f16_e32 v69, 0x36a6, v42
	v_fma_f16 v110, v42, 0x3abb, -v70
	v_fmac_f16_e32 v70, 0x3abb, v42
	v_fma_f16 v111, v42, 0xb93d, -v41
	v_fmac_f16_e32 v41, 0xb93d, v42
	v_fmamk_f16 v31, v44, 0xb08e, v71
	v_fma_f16 v32, v44, 0xb08e, -v71
	v_fmamk_f16 v42, v44, 0xbbad, v72
	v_fma_f16 v71, v44, 0xbbad, -v72
	v_fmamk_f16 v72, v44, 0x36a6, v73
	v_fma_f16 v73, v44, 0x36a6, -v73
	v_fmamk_f16 v112, v44, 0x3abb, v74
	v_fma_f16 v74, v44, 0x3abb, -v74
	v_fmamk_f16 v113, v44, 0xb93d, v43
	v_fma_f16 v43, v44, 0xb93d, -v43
	;; [unrolled: 20-line block ×4, first 2 shown]
	v_add_f16_e32 v28, v91, v10
	v_add_f16_sdwa v52, v92, v10 dst_sel:DWORD dst_unused:UNUSED_PAD src0_sel:DWORD src1_sel:WORD_1
	v_add_f16_e32 v35, v35, v10
	v_add_f16_sdwa v36, v36, v10 dst_sel:DWORD dst_unused:UNUSED_PAD src0_sel:DWORD src1_sel:WORD_1
	;; [unrolled: 2-line block ×7, first 2 shown]
	v_add_f16_e32 v57, v57, v10
	v_add_f16_e32 v97, v99, v10
	v_add_f16_sdwa v27, v100, v10 dst_sel:DWORD dst_unused:UNUSED_PAD src0_sel:DWORD src1_sel:WORD_1
	v_add_f16_sdwa v58, v58, v10 dst_sel:DWORD dst_unused:UNUSED_PAD src0_sel:DWORD src1_sel:WORD_1
	v_add_f16_e32 v38, v38, v10
	v_add_f16_sdwa v10, v29, v10 dst_sel:DWORD dst_unused:UNUSED_PAD src0_sel:DWORD src1_sel:WORD_1
	v_add_f16_e32 v24, v25, v24
	v_add_f16_e32 v18, v22, v18
	;; [unrolled: 1-line block ×90, first 2 shown]
	v_pack_b32_f16 v14, v16, v18
	v_pack_b32_f16 v16, v23, v24
	;; [unrolled: 1-line block ×11, first 2 shown]
	ds_write2_b32 v0, v16, v17 offset0:96 offset1:144
	ds_write2_b32 v0, v18, v23 offset0:192 offset1:240
	;; [unrolled: 1-line block ×4, first 2 shown]
	ds_write_b32 v0, v19 offset:1920
	ds_write2_b32 v0, v11, v14 offset1:48
	s_waitcnt lgkmcnt(0)
	s_barrier
	buffer_gl0_inv
	ds_read_b32 v8, v0
	v_sub_nc_u32_e32 v13, 0, v4
                                        ; implicit-def: $vgpr15
                                        ; implicit-def: $vgpr14
                                        ; implicit-def: $vgpr11_vgpr12
	v_cmpx_ne_u32_e32 0, v3
	s_xor_b32 s5, exec_lo, s5
	s_cbranch_execz .LBB0_25
; %bb.24:
	v_mov_b32_e32 v4, 0
	v_lshlrev_b64 v[10:11], 2, v[3:4]
	v_add_co_u32 v10, s0, s1, v10
	v_add_co_ci_u32_e64 v11, s0, s4, v11, s0
	global_load_dword v10, v[10:11], off
	ds_read_b32 v11, v13 offset:2112
	s_waitcnt lgkmcnt(0)
	v_sub_f16_e32 v12, v8, v11
	v_add_f16_sdwa v14, v11, v8 dst_sel:DWORD dst_unused:UNUSED_PAD src0_sel:WORD_1 src1_sel:WORD_1
	v_sub_f16_sdwa v15, v8, v11 dst_sel:DWORD dst_unused:UNUSED_PAD src0_sel:WORD_1 src1_sel:WORD_1
	v_add_f16_e32 v8, v11, v8
	v_mul_f16_e32 v12, 0.5, v12
	v_mul_f16_e32 v17, 0.5, v14
	;; [unrolled: 1-line block ×3, first 2 shown]
	s_waitcnt vmcnt(0)
	v_lshrrev_b32_e32 v16, 16, v10
	v_mul_f16_e32 v11, v16, v12
	v_fma_f16 v15, v17, v16, v14
	v_fma_f16 v16, v17, v16, -v14
	v_fma_f16 v14, 0.5, v8, v11
	v_fma_f16 v8, v8, 0.5, -v11
	v_fma_f16 v18, -v10, v12, v15
	v_fma_f16 v16, -v10, v12, v16
	v_mov_b32_e32 v12, v4
	v_fmac_f16_e32 v14, v10, v17
	v_fma_f16 v15, -v10, v17, v8
	v_mov_b32_e32 v11, v3
	ds_write_b16 v0, v18 offset:2
	ds_write_b16 v13, v16 offset:2114
                                        ; implicit-def: $vgpr8
.LBB0_25:
	s_andn2_saveexec_b32 s0, s5
	s_cbranch_execz .LBB0_27
; %bb.26:
	v_mov_b32_e32 v4, 0
	v_mov_b32_e32 v11, 0
	s_waitcnt lgkmcnt(0)
	v_add_f16_sdwa v14, v8, v8 dst_sel:DWORD dst_unused:UNUSED_PAD src0_sel:WORD_1 src1_sel:DWORD
	v_mov_b32_e32 v12, 0
	v_sub_f16_sdwa v15, v8, v8 dst_sel:DWORD dst_unused:UNUSED_PAD src0_sel:DWORD src1_sel:WORD_1
	ds_write_b16 v0, v4 offset:2
	ds_write_b16 v13, v4 offset:2114
	ds_read_u16 v10, v4 offset:1058
	s_waitcnt lgkmcnt(0)
	v_xor_b32_e32 v10, 0x8000, v10
	ds_write_b16 v4, v10 offset:1058
.LBB0_27:
	s_or_b32 exec_lo, exec_lo, s0
	s_waitcnt lgkmcnt(0)
	v_mov_b32_e32 v8, 0
	v_lshlrev_b64 v[16:17], 2, v[7:8]
	v_mov_b32_e32 v10, v8
	v_lshlrev_b64 v[7:8], 2, v[9:10]
	v_add_co_u32 v16, s0, s1, v16
	v_add_co_ci_u32_e64 v17, s0, s4, v17, s0
	v_add_co_u32 v7, s0, s1, v7
	global_load_dword v4, v[16:17], off
	v_add_co_ci_u32_e64 v8, s0, s4, v8, s0
	global_load_dword v9, v[7:8], off
	v_lshlrev_b64 v[7:8], 2, v[11:12]
	v_add_co_u32 v7, s0, s1, v7
	v_add_co_ci_u32_e64 v8, s0, s4, v8, s0
	s_clause 0x1
	global_load_dword v10, v[7:8], off offset:576
	global_load_dword v11, v[7:8], off offset:768
	ds_write_b16 v0, v14
	ds_write_b16 v13, v15 offset:2112
	ds_read_b32 v12, v21
	ds_read_b32 v14, v13 offset:1920
	s_mov_b32 s1, exec_lo
	s_waitcnt lgkmcnt(0)
	v_pk_add_f16 v15, v12, v14 neg_lo:[0,1] neg_hi:[0,1]
	v_pk_add_f16 v12, v12, v14
	v_bfi_b32 v14, 0xffff, v15, v12
	v_bfi_b32 v12, 0xffff, v12, v15
	v_pk_mul_f16 v14, v14, 0.5 op_sel_hi:[1,0]
	v_pk_mul_f16 v12, v12, 0.5 op_sel_hi:[1,0]
	s_waitcnt vmcnt(3)
	v_pk_fma_f16 v15, v4, v14, v12 op_sel:[1,0,0]
	v_pk_mul_f16 v16, v4, v14 op_sel_hi:[0,1]
	v_pk_fma_f16 v17, v4, v14, v12 op_sel:[1,0,0] neg_lo:[1,0,0] neg_hi:[1,0,0]
	v_pk_fma_f16 v4, v4, v14, v12 op_sel:[1,0,0] neg_lo:[0,0,1] neg_hi:[0,0,1]
	v_pk_add_f16 v12, v15, v16 op_sel:[0,1] op_sel_hi:[1,0]
	v_pk_add_f16 v14, v15, v16 op_sel:[0,1] op_sel_hi:[1,0] neg_lo:[0,1] neg_hi:[0,1]
	v_pk_add_f16 v15, v17, v16 op_sel:[0,1] op_sel_hi:[1,0] neg_lo:[0,1] neg_hi:[0,1]
	;; [unrolled: 1-line block ×3, first 2 shown]
	v_bfi_b32 v12, 0xffff, v12, v14
	v_bfi_b32 v4, 0xffff, v15, v4
	ds_write_b32 v21, v12
	ds_write_b32 v13, v4 offset:1920
	ds_read_b32 v4, v20
	ds_read_b32 v12, v13 offset:1728
	s_waitcnt lgkmcnt(0)
	v_pk_add_f16 v14, v4, v12 neg_lo:[0,1] neg_hi:[0,1]
	v_pk_add_f16 v4, v4, v12
	v_bfi_b32 v12, 0xffff, v14, v4
	v_bfi_b32 v4, 0xffff, v4, v14
	v_pk_mul_f16 v12, v12, 0.5 op_sel_hi:[1,0]
	v_pk_mul_f16 v4, v4, 0.5 op_sel_hi:[1,0]
	s_waitcnt vmcnt(2)
	v_pk_mul_f16 v15, v9, v12 op_sel_hi:[0,1]
	v_pk_fma_f16 v14, v9, v12, v4 op_sel:[1,0,0]
	v_pk_fma_f16 v16, v9, v12, v4 op_sel:[1,0,0] neg_lo:[1,0,0] neg_hi:[1,0,0]
	v_pk_fma_f16 v4, v9, v12, v4 op_sel:[1,0,0] neg_lo:[0,0,1] neg_hi:[0,0,1]
	v_pk_add_f16 v9, v14, v15 op_sel:[0,1] op_sel_hi:[1,0]
	v_pk_add_f16 v12, v14, v15 op_sel:[0,1] op_sel_hi:[1,0] neg_lo:[0,1] neg_hi:[0,1]
	v_pk_add_f16 v14, v16, v15 op_sel:[0,1] op_sel_hi:[1,0] neg_lo:[0,1] neg_hi:[0,1]
	;; [unrolled: 1-line block ×3, first 2 shown]
	v_bfi_b32 v9, 0xffff, v9, v12
	v_bfi_b32 v4, 0xffff, v14, v4
	ds_write_b32 v20, v9
	ds_write_b32 v13, v4 offset:1728
	ds_read_b32 v4, v0 offset:576
	ds_read_b32 v9, v13 offset:1536
	s_waitcnt lgkmcnt(0)
	v_pk_add_f16 v12, v4, v9 neg_lo:[0,1] neg_hi:[0,1]
	v_pk_add_f16 v4, v4, v9
	v_bfi_b32 v9, 0xffff, v12, v4
	v_bfi_b32 v4, 0xffff, v4, v12
	v_pk_mul_f16 v9, v9, 0.5 op_sel_hi:[1,0]
	v_pk_mul_f16 v4, v4, 0.5 op_sel_hi:[1,0]
	s_waitcnt vmcnt(1)
	v_pk_mul_f16 v14, v10, v9 op_sel_hi:[0,1]
	v_pk_fma_f16 v12, v10, v9, v4 op_sel:[1,0,0]
	v_pk_fma_f16 v15, v10, v9, v4 op_sel:[1,0,0] neg_lo:[1,0,0] neg_hi:[1,0,0]
	v_pk_fma_f16 v4, v10, v9, v4 op_sel:[1,0,0] neg_lo:[0,0,1] neg_hi:[0,0,1]
	v_pk_add_f16 v9, v12, v14 op_sel:[0,1] op_sel_hi:[1,0]
	v_pk_add_f16 v10, v12, v14 op_sel:[0,1] op_sel_hi:[1,0] neg_lo:[0,1] neg_hi:[0,1]
	v_pk_add_f16 v12, v15, v14 op_sel:[0,1] op_sel_hi:[1,0] neg_lo:[0,1] neg_hi:[0,1]
	;; [unrolled: 1-line block ×3, first 2 shown]
	v_bfi_b32 v9, 0xffff, v9, v10
	v_bfi_b32 v4, 0xffff, v12, v4
	ds_write_b32 v0, v9 offset:576
	ds_write_b32 v13, v4 offset:1536
	ds_read_b32 v4, v0 offset:768
	ds_read_b32 v9, v13 offset:1344
	s_waitcnt lgkmcnt(0)
	v_pk_add_f16 v10, v4, v9 neg_lo:[0,1] neg_hi:[0,1]
	v_pk_add_f16 v4, v4, v9
	v_bfi_b32 v9, 0xffff, v10, v4
	v_bfi_b32 v4, 0xffff, v4, v10
	v_pk_mul_f16 v9, v9, 0.5 op_sel_hi:[1,0]
	v_pk_mul_f16 v4, v4, 0.5 op_sel_hi:[1,0]
	s_waitcnt vmcnt(0)
	v_pk_mul_f16 v12, v11, v9 op_sel_hi:[0,1]
	v_pk_fma_f16 v10, v11, v9, v4 op_sel:[1,0,0]
	v_pk_fma_f16 v14, v11, v9, v4 op_sel:[1,0,0] neg_lo:[1,0,0] neg_hi:[1,0,0]
	v_pk_fma_f16 v4, v11, v9, v4 op_sel:[1,0,0] neg_lo:[0,0,1] neg_hi:[0,0,1]
	v_pk_add_f16 v9, v10, v12 op_sel:[0,1] op_sel_hi:[1,0]
	v_pk_add_f16 v10, v10, v12 op_sel:[0,1] op_sel_hi:[1,0] neg_lo:[0,1] neg_hi:[0,1]
	v_pk_add_f16 v11, v14, v12 op_sel:[0,1] op_sel_hi:[1,0] neg_lo:[0,1] neg_hi:[0,1]
	;; [unrolled: 1-line block ×3, first 2 shown]
	v_bfi_b32 v9, 0xffff, v9, v10
	v_bfi_b32 v4, 0xffff, v11, v4
	ds_write_b32 v0, v9 offset:768
	ds_write_b32 v13, v4 offset:1344
	v_cmpx_gt_u32_e32 24, v3
	s_cbranch_execz .LBB0_29
; %bb.28:
	global_load_dword v4, v[7:8], off offset:960
	ds_read_b32 v7, v0 offset:960
	ds_read_b32 v8, v13 offset:1152
	s_waitcnt lgkmcnt(0)
	v_pk_add_f16 v9, v7, v8 neg_lo:[0,1] neg_hi:[0,1]
	v_pk_add_f16 v7, v7, v8
	v_bfi_b32 v8, 0xffff, v9, v7
	v_bfi_b32 v7, 0xffff, v7, v9
	v_pk_mul_f16 v8, v8, 0.5 op_sel_hi:[1,0]
	v_pk_mul_f16 v7, v7, 0.5 op_sel_hi:[1,0]
	s_waitcnt vmcnt(0)
	v_pk_fma_f16 v9, v4, v8, v7 op_sel:[1,0,0]
	v_pk_mul_f16 v10, v4, v8 op_sel_hi:[0,1]
	v_pk_fma_f16 v11, v4, v8, v7 op_sel:[1,0,0] neg_lo:[1,0,0] neg_hi:[1,0,0]
	v_pk_fma_f16 v4, v4, v8, v7 op_sel:[1,0,0] neg_lo:[0,0,1] neg_hi:[0,0,1]
	v_pk_add_f16 v7, v9, v10 op_sel:[0,1] op_sel_hi:[1,0]
	v_pk_add_f16 v8, v9, v10 op_sel:[0,1] op_sel_hi:[1,0] neg_lo:[0,1] neg_hi:[0,1]
	v_pk_add_f16 v9, v11, v10 op_sel:[0,1] op_sel_hi:[1,0] neg_lo:[0,1] neg_hi:[0,1]
	;; [unrolled: 1-line block ×3, first 2 shown]
	v_bfi_b32 v7, 0xffff, v7, v8
	v_bfi_b32 v4, 0xffff, v9, v4
	ds_write_b32 v0, v7 offset:960
	ds_write_b32 v13, v4 offset:1152
.LBB0_29:
	s_or_b32 exec_lo, exec_lo, s1
	s_waitcnt lgkmcnt(0)
	s_barrier
	buffer_gl0_inv
	s_and_saveexec_b32 s0, vcc_lo
	s_cbranch_execz .LBB0_32
; %bb.30:
	v_mul_lo_u32 v0, s3, v5
	v_mul_lo_u32 v7, s2, v6
	v_mad_u64_u32 v[5:6], null, s2, v5, 0
	v_lshl_add_u32 v21, v3, 2, 0
	v_mov_b32_e32 v4, 0
	v_add_nc_u32_e32 v9, 0x60, v3
	v_add_nc_u32_e32 v19, 0x150, v3
	ds_read2_b32 v[11:12], v21 offset1:48
	v_add3_u32 v6, v6, v7, v0
	v_lshlrev_b64 v[0:1], 2, v[1:2]
	v_add_nc_u32_e32 v7, 48, v3
	v_mov_b32_e32 v8, v4
	ds_read2_b32 v[15:16], v21 offset0:96 offset1:144
	v_lshlrev_b64 v[5:6], 2, v[5:6]
	v_lshlrev_b64 v[13:14], 2, v[3:4]
	v_mov_b32_e32 v10, v4
	v_mov_b32_e32 v20, v4
	v_add_co_u32 v2, vcc_lo, s10, v5
	v_add_co_ci_u32_e32 v17, vcc_lo, s11, v6, vcc_lo
	v_lshlrev_b64 v[5:6], 2, v[7:8]
	v_add_co_u32 v0, vcc_lo, v2, v0
	v_add_co_ci_u32_e32 v1, vcc_lo, v17, v1, vcc_lo
	v_lshlrev_b64 v[7:8], 2, v[9:10]
	v_add_co_u32 v9, vcc_lo, v0, v13
	v_add_co_ci_u32_e32 v10, vcc_lo, v1, v14, vcc_lo
	v_add_co_u32 v5, vcc_lo, v0, v5
	v_add_co_ci_u32_e32 v6, vcc_lo, v1, v6, vcc_lo
	v_add_co_u32 v7, vcc_lo, v0, v7
	v_add_co_ci_u32_e32 v8, vcc_lo, v1, v8, vcc_lo
	v_add_nc_u32_e32 v13, 0x90, v3
	v_mov_b32_e32 v14, v4
	v_add_nc_u32_e32 v2, 0x400, v21
	s_waitcnt lgkmcnt(1)
	global_store_dword v[9:10], v11, off
	global_store_dword v[5:6], v12, off
	s_waitcnt lgkmcnt(0)
	global_store_dword v[7:8], v15, off
	v_add_nc_u32_e32 v7, 0xc0, v3
	v_mov_b32_e32 v8, v4
	v_lshlrev_b64 v[5:6], 2, v[13:14]
	ds_read2_b32 v[11:12], v21 offset0:192 offset1:240
	v_add_nc_u32_e32 v9, 0xf0, v3
	v_mov_b32_e32 v10, v4
	ds_read2_b32 v[17:18], v2 offset0:32 offset1:80
	v_lshlrev_b64 v[7:8], 2, v[7:8]
	v_add_nc_u32_e32 v13, 0x120, v3
	v_add_co_u32 v5, vcc_lo, v0, v5
	v_lshlrev_b64 v[9:10], 2, v[9:10]
	v_add_co_ci_u32_e32 v6, vcc_lo, v1, v6, vcc_lo
	v_add_co_u32 v7, vcc_lo, v0, v7
	v_lshlrev_b64 v[13:14], 2, v[13:14]
	v_add_co_ci_u32_e32 v8, vcc_lo, v1, v8, vcc_lo
	v_add_co_u32 v9, vcc_lo, v0, v9
	v_add_co_ci_u32_e32 v10, vcc_lo, v1, v10, vcc_lo
	v_add_co_u32 v13, vcc_lo, v0, v13
	v_add_co_ci_u32_e32 v14, vcc_lo, v1, v14, vcc_lo
	global_store_dword v[5:6], v16, off
	s_waitcnt lgkmcnt(1)
	global_store_dword v[7:8], v11, off
	global_store_dword v[9:10], v12, off
	s_waitcnt lgkmcnt(0)
	global_store_dword v[13:14], v17, off
	v_add_nc_u32_e32 v7, 0x180, v3
	v_mov_b32_e32 v8, v4
	v_lshlrev_b64 v[5:6], 2, v[19:20]
	v_add_nc_u32_e32 v9, 0x1b0, v3
	v_mov_b32_e32 v10, v4
	ds_read2_b32 v[11:12], v2 offset0:128 offset1:176
	v_lshlrev_b64 v[7:8], 2, v[7:8]
	v_add_nc_u32_e32 v13, 0x1e0, v3
	v_mov_b32_e32 v14, v4
	v_add_co_u32 v5, vcc_lo, v0, v5
	v_lshlrev_b64 v[9:10], 2, v[9:10]
	ds_read_b32 v2, v21 offset:1920
	v_add_co_ci_u32_e32 v6, vcc_lo, v1, v6, vcc_lo
	v_add_co_u32 v7, vcc_lo, v0, v7
	v_lshlrev_b64 v[13:14], 2, v[13:14]
	v_add_co_ci_u32_e32 v8, vcc_lo, v1, v8, vcc_lo
	v_add_co_u32 v9, vcc_lo, v0, v9
	v_add_co_ci_u32_e32 v10, vcc_lo, v1, v10, vcc_lo
	v_add_co_u32 v13, vcc_lo, v0, v13
	v_add_co_ci_u32_e32 v14, vcc_lo, v1, v14, vcc_lo
	v_cmp_eq_u32_e32 vcc_lo, 47, v3
	global_store_dword v[5:6], v18, off
	s_waitcnt lgkmcnt(1)
	global_store_dword v[7:8], v11, off
	global_store_dword v[9:10], v12, off
	s_waitcnt lgkmcnt(0)
	global_store_dword v[13:14], v2, off
	s_and_b32 exec_lo, exec_lo, vcc_lo
	s_cbranch_execz .LBB0_32
; %bb.31:
	ds_read_b32 v2, v4 offset:2112
	v_add_co_u32 v0, vcc_lo, 0x800, v0
	v_add_co_ci_u32_e32 v1, vcc_lo, 0, v1, vcc_lo
	s_waitcnt lgkmcnt(0)
	global_store_dword v[0:1], v2, off offset:64
.LBB0_32:
	s_endpgm
	.section	.rodata,"a",@progbits
	.p2align	6, 0x0
	.amdhsa_kernel fft_rtc_fwd_len528_factors_4_4_3_11_wgs_48_tpt_48_halfLds_half_op_CI_CI_unitstride_sbrr_R2C_dirReg
		.amdhsa_group_segment_fixed_size 0
		.amdhsa_private_segment_fixed_size 0
		.amdhsa_kernarg_size 104
		.amdhsa_user_sgpr_count 6
		.amdhsa_user_sgpr_private_segment_buffer 1
		.amdhsa_user_sgpr_dispatch_ptr 0
		.amdhsa_user_sgpr_queue_ptr 0
		.amdhsa_user_sgpr_kernarg_segment_ptr 1
		.amdhsa_user_sgpr_dispatch_id 0
		.amdhsa_user_sgpr_flat_scratch_init 0
		.amdhsa_user_sgpr_private_segment_size 0
		.amdhsa_wavefront_size32 1
		.amdhsa_uses_dynamic_stack 0
		.amdhsa_system_sgpr_private_segment_wavefront_offset 0
		.amdhsa_system_sgpr_workgroup_id_x 1
		.amdhsa_system_sgpr_workgroup_id_y 0
		.amdhsa_system_sgpr_workgroup_id_z 0
		.amdhsa_system_sgpr_workgroup_info 0
		.amdhsa_system_vgpr_workitem_id 0
		.amdhsa_next_free_vgpr 130
		.amdhsa_next_free_sgpr 27
		.amdhsa_reserve_vcc 1
		.amdhsa_reserve_flat_scratch 0
		.amdhsa_float_round_mode_32 0
		.amdhsa_float_round_mode_16_64 0
		.amdhsa_float_denorm_mode_32 3
		.amdhsa_float_denorm_mode_16_64 3
		.amdhsa_dx10_clamp 1
		.amdhsa_ieee_mode 1
		.amdhsa_fp16_overflow 0
		.amdhsa_workgroup_processor_mode 1
		.amdhsa_memory_ordered 1
		.amdhsa_forward_progress 0
		.amdhsa_shared_vgpr_count 0
		.amdhsa_exception_fp_ieee_invalid_op 0
		.amdhsa_exception_fp_denorm_src 0
		.amdhsa_exception_fp_ieee_div_zero 0
		.amdhsa_exception_fp_ieee_overflow 0
		.amdhsa_exception_fp_ieee_underflow 0
		.amdhsa_exception_fp_ieee_inexact 0
		.amdhsa_exception_int_div_zero 0
	.end_amdhsa_kernel
	.text
.Lfunc_end0:
	.size	fft_rtc_fwd_len528_factors_4_4_3_11_wgs_48_tpt_48_halfLds_half_op_CI_CI_unitstride_sbrr_R2C_dirReg, .Lfunc_end0-fft_rtc_fwd_len528_factors_4_4_3_11_wgs_48_tpt_48_halfLds_half_op_CI_CI_unitstride_sbrr_R2C_dirReg
                                        ; -- End function
	.section	.AMDGPU.csdata,"",@progbits
; Kernel info:
; codeLenInByte = 8728
; NumSgprs: 29
; NumVgprs: 130
; ScratchSize: 0
; MemoryBound: 0
; FloatMode: 240
; IeeeMode: 1
; LDSByteSize: 0 bytes/workgroup (compile time only)
; SGPRBlocks: 3
; VGPRBlocks: 16
; NumSGPRsForWavesPerEU: 29
; NumVGPRsForWavesPerEU: 130
; Occupancy: 7
; WaveLimiterHint : 1
; COMPUTE_PGM_RSRC2:SCRATCH_EN: 0
; COMPUTE_PGM_RSRC2:USER_SGPR: 6
; COMPUTE_PGM_RSRC2:TRAP_HANDLER: 0
; COMPUTE_PGM_RSRC2:TGID_X_EN: 1
; COMPUTE_PGM_RSRC2:TGID_Y_EN: 0
; COMPUTE_PGM_RSRC2:TGID_Z_EN: 0
; COMPUTE_PGM_RSRC2:TIDIG_COMP_CNT: 0
	.text
	.p2alignl 6, 3214868480
	.fill 48, 4, 3214868480
	.type	__hip_cuid_8f22747a71e807fd,@object ; @__hip_cuid_8f22747a71e807fd
	.section	.bss,"aw",@nobits
	.globl	__hip_cuid_8f22747a71e807fd
__hip_cuid_8f22747a71e807fd:
	.byte	0                               ; 0x0
	.size	__hip_cuid_8f22747a71e807fd, 1

	.ident	"AMD clang version 19.0.0git (https://github.com/RadeonOpenCompute/llvm-project roc-6.4.0 25133 c7fe45cf4b819c5991fe208aaa96edf142730f1d)"
	.section	".note.GNU-stack","",@progbits
	.addrsig
	.addrsig_sym __hip_cuid_8f22747a71e807fd
	.amdgpu_metadata
---
amdhsa.kernels:
  - .args:
      - .actual_access:  read_only
        .address_space:  global
        .offset:         0
        .size:           8
        .value_kind:     global_buffer
      - .offset:         8
        .size:           8
        .value_kind:     by_value
      - .actual_access:  read_only
        .address_space:  global
        .offset:         16
        .size:           8
        .value_kind:     global_buffer
      - .actual_access:  read_only
        .address_space:  global
        .offset:         24
        .size:           8
        .value_kind:     global_buffer
      - .actual_access:  read_only
        .address_space:  global
        .offset:         32
        .size:           8
        .value_kind:     global_buffer
      - .offset:         40
        .size:           8
        .value_kind:     by_value
      - .actual_access:  read_only
        .address_space:  global
        .offset:         48
        .size:           8
        .value_kind:     global_buffer
      - .actual_access:  read_only
        .address_space:  global
        .offset:         56
        .size:           8
        .value_kind:     global_buffer
      - .offset:         64
        .size:           4
        .value_kind:     by_value
      - .actual_access:  read_only
        .address_space:  global
        .offset:         72
        .size:           8
        .value_kind:     global_buffer
      - .actual_access:  read_only
        .address_space:  global
        .offset:         80
        .size:           8
        .value_kind:     global_buffer
      - .actual_access:  read_only
        .address_space:  global
        .offset:         88
        .size:           8
        .value_kind:     global_buffer
      - .actual_access:  write_only
        .address_space:  global
        .offset:         96
        .size:           8
        .value_kind:     global_buffer
    .group_segment_fixed_size: 0
    .kernarg_segment_align: 8
    .kernarg_segment_size: 104
    .language:       OpenCL C
    .language_version:
      - 2
      - 0
    .max_flat_workgroup_size: 48
    .name:           fft_rtc_fwd_len528_factors_4_4_3_11_wgs_48_tpt_48_halfLds_half_op_CI_CI_unitstride_sbrr_R2C_dirReg
    .private_segment_fixed_size: 0
    .sgpr_count:     29
    .sgpr_spill_count: 0
    .symbol:         fft_rtc_fwd_len528_factors_4_4_3_11_wgs_48_tpt_48_halfLds_half_op_CI_CI_unitstride_sbrr_R2C_dirReg.kd
    .uniform_work_group_size: 1
    .uses_dynamic_stack: false
    .vgpr_count:     130
    .vgpr_spill_count: 0
    .wavefront_size: 32
    .workgroup_processor_mode: 1
amdhsa.target:   amdgcn-amd-amdhsa--gfx1030
amdhsa.version:
  - 1
  - 2
...

	.end_amdgpu_metadata
